;; amdgpu-corpus repo=LLNL/RAJAPerf kind=compiled arch=gfx1250 opt=O3
	.amdgcn_target "amdgcn-amd-amdhsa--gfx1250"
	.amdhsa_code_object_version 6
	.text
	.protected	_Z13matMultKerneliPdS_S_ ; -- Begin function _Z13matMultKerneliPdS_S_
	.globl	_Z13matMultKerneliPdS_S_
	.p2align	8
	.type	_Z13matMultKerneliPdS_S_,@function
_Z13matMultKerneliPdS_S_:               ; @_Z13matMultKerneliPdS_S_
; %bb.0:
	s_clause 0x1
	s_load_b32 s2, s[0:1], 0x2c
	s_load_b32 s8, s[0:1], 0x0
	s_bfe_u32 s4, ttmp6, 0x4000c
	s_bfe_u32 s5, ttmp6, 0x40010
	s_add_co_i32 s4, s4, 1
	s_add_co_i32 s5, s5, 1
	s_and_b32 s3, ttmp6, 15
	s_bfe_u32 s6, ttmp6, 0x40004
	s_mul_i32 s4, ttmp9, s4
	s_mul_i32 s5, ttmp7, s5
	s_getreg_b32 s7, hwreg(HW_REG_IB_STS2, 6, 4)
	v_bfe_u32 v1, v0, 10, 10
	v_and_b32_e32 v2, 0x3ff, v0
	s_add_co_i32 s3, s3, s4
	s_add_co_i32 s6, s6, s5
	s_wait_kmcnt 0x0
	s_lshr_b32 s4, s2, 16
	s_and_b32 s2, s2, 0xffff
	s_cmp_eq_u32 s7, 0
	s_cselect_b32 s5, ttmp7, s6
	s_cselect_b32 s3, ttmp9, s3
	v_mad_u32 v0, s5, s4, v1
	v_mad_u32 v6, s3, s2, v2
	s_mov_b32 s2, exec_lo
	s_delay_alu instid0(VALU_DEP_1) | instskip(NEXT) | instid1(VALU_DEP_1)
	v_max_i32_e32 v1, v0, v6
	v_cmpx_gt_i32_e64 s8, v1
	s_cbranch_execz .LBB0_6
; %bb.1:
	s_clause 0x1
	s_load_b128 s[4:7], s[0:1], 0x8
	s_load_b64 s[2:3], s[0:1], 0x18
	v_mul_lo_u32 v0, v0, s8
	s_cmp_lt_i32 s8, 1
	s_cbranch_scc1 .LBB0_4
; %bb.2:
	s_delay_alu instid0(VALU_DEP_1)
	v_ashrrev_i32_e32 v1, 31, v0
	v_mov_b64_e32 v[2:3], 0
	s_wait_xcnt 0x0
	s_mov_b32 s0, s8
	s_wait_kmcnt 0x0
	v_lshl_add_u64 v[4:5], v[0:1], 3, s[6:7]
	v_mov_b32_e32 v1, v6
.LBB0_3:                                ; =>This Inner Loop Header: Depth=1
	global_load_b64 v[8:9], v[4:5], off
	global_load_b64 v[10:11], v1, s[2:3] scale_offset
	s_wait_xcnt 0x1
	v_add_nc_u64_e32 v[4:5], 8, v[4:5]
	s_wait_xcnt 0x0
	v_add_nc_u32_e32 v1, s8, v1
	s_add_co_i32 s0, s0, -1
	s_delay_alu instid0(SALU_CYCLE_1)
	s_cmp_eq_u32 s0, 0
	s_wait_loadcnt 0x0
	v_fmac_f64_e32 v[2:3], v[8:9], v[10:11]
	s_cbranch_scc0 .LBB0_3
	s_branch .LBB0_5
.LBB0_4:
	v_mov_b64_e32 v[2:3], 0
.LBB0_5:
	s_delay_alu instid0(VALU_DEP_2)
	v_add_nc_u32_e32 v0, v6, v0
	s_wait_kmcnt 0x0
	global_store_b64 v0, v[2:3], s[4:5] scale_offset
.LBB0_6:
	s_endpgm
	.section	.rodata,"a",@progbits
	.p2align	6, 0x0
	.amdhsa_kernel _Z13matMultKerneliPdS_S_
		.amdhsa_group_segment_fixed_size 0
		.amdhsa_private_segment_fixed_size 0
		.amdhsa_kernarg_size 288
		.amdhsa_user_sgpr_count 2
		.amdhsa_user_sgpr_dispatch_ptr 0
		.amdhsa_user_sgpr_queue_ptr 0
		.amdhsa_user_sgpr_kernarg_segment_ptr 1
		.amdhsa_user_sgpr_dispatch_id 0
		.amdhsa_user_sgpr_kernarg_preload_length 0
		.amdhsa_user_sgpr_kernarg_preload_offset 0
		.amdhsa_user_sgpr_private_segment_size 0
		.amdhsa_wavefront_size32 1
		.amdhsa_uses_dynamic_stack 0
		.amdhsa_enable_private_segment 0
		.amdhsa_system_sgpr_workgroup_id_x 1
		.amdhsa_system_sgpr_workgroup_id_y 1
		.amdhsa_system_sgpr_workgroup_id_z 0
		.amdhsa_system_sgpr_workgroup_info 0
		.amdhsa_system_vgpr_workitem_id 1
		.amdhsa_next_free_vgpr 12
		.amdhsa_next_free_sgpr 9
		.amdhsa_named_barrier_count 0
		.amdhsa_reserve_vcc 0
		.amdhsa_float_round_mode_32 0
		.amdhsa_float_round_mode_16_64 0
		.amdhsa_float_denorm_mode_32 3
		.amdhsa_float_denorm_mode_16_64 3
		.amdhsa_fp16_overflow 0
		.amdhsa_memory_ordered 1
		.amdhsa_forward_progress 1
		.amdhsa_inst_pref_size 3
		.amdhsa_round_robin_scheduling 0
		.amdhsa_exception_fp_ieee_invalid_op 0
		.amdhsa_exception_fp_denorm_src 0
		.amdhsa_exception_fp_ieee_div_zero 0
		.amdhsa_exception_fp_ieee_overflow 0
		.amdhsa_exception_fp_ieee_underflow 0
		.amdhsa_exception_fp_ieee_inexact 0
		.amdhsa_exception_int_div_zero 0
	.end_amdhsa_kernel
	.text
.Lfunc_end0:
	.size	_Z13matMultKerneliPdS_S_, .Lfunc_end0-_Z13matMultKerneliPdS_S_
                                        ; -- End function
	.set _Z13matMultKerneliPdS_S_.num_vgpr, 12
	.set _Z13matMultKerneliPdS_S_.num_agpr, 0
	.set _Z13matMultKerneliPdS_S_.numbered_sgpr, 9
	.set _Z13matMultKerneliPdS_S_.num_named_barrier, 0
	.set _Z13matMultKerneliPdS_S_.private_seg_size, 0
	.set _Z13matMultKerneliPdS_S_.uses_vcc, 0
	.set _Z13matMultKerneliPdS_S_.uses_flat_scratch, 0
	.set _Z13matMultKerneliPdS_S_.has_dyn_sized_stack, 0
	.set _Z13matMultKerneliPdS_S_.has_recursion, 0
	.set _Z13matMultKerneliPdS_S_.has_indirect_call, 0
	.section	.AMDGPU.csdata,"",@progbits
; Kernel info:
; codeLenInByte = 332
; TotalNumSgprs: 9
; NumVgprs: 12
; ScratchSize: 0
; MemoryBound: 0
; FloatMode: 240
; IeeeMode: 1
; LDSByteSize: 0 bytes/workgroup (compile time only)
; SGPRBlocks: 0
; VGPRBlocks: 0
; NumSGPRsForWavesPerEU: 9
; NumVGPRsForWavesPerEU: 12
; NamedBarCnt: 0
; Occupancy: 16
; WaveLimiterHint : 0
; COMPUTE_PGM_RSRC2:SCRATCH_EN: 0
; COMPUTE_PGM_RSRC2:USER_SGPR: 2
; COMPUTE_PGM_RSRC2:TRAP_HANDLER: 0
; COMPUTE_PGM_RSRC2:TGID_X_EN: 1
; COMPUTE_PGM_RSRC2:TGID_Y_EN: 1
; COMPUTE_PGM_RSRC2:TGID_Z_EN: 0
; COMPUTE_PGM_RSRC2:TIDIG_COMP_CNT: 1
	.text
	.protected	_Z19sharedMatMultKerneliPdS_S_ ; -- Begin function _Z19sharedMatMultKerneliPdS_S_
	.globl	_Z19sharedMatMultKerneliPdS_S_
	.p2align	8
	.type	_Z19sharedMatMultKerneliPdS_S_,@function
_Z19sharedMatMultKerneliPdS_S_:         ; @_Z19sharedMatMultKerneliPdS_S_
; %bb.0:
	s_bfe_u32 s3, ttmp6, 0x4000c
	s_bfe_u32 s11, ttmp6, 0x40010
	s_add_co_i32 s3, s3, 1
	s_add_co_i32 s11, s11, 1
	s_and_b32 s2, ttmp6, 15
	s_mul_i32 s3, ttmp9, s3
	s_mul_i32 s11, ttmp7, s11
	s_bfe_u32 s12, ttmp6, 0x40004
	s_add_co_i32 s2, s2, s3
	s_getreg_b32 s3, hwreg(HW_REG_IB_STS2, 6, 4)
	s_clause 0x2
	s_load_b32 s10, s[0:1], 0x0
	s_load_b128 s[4:7], s[0:1], 0x8
	s_load_b64 s[8:9], s[0:1], 0x18
	v_and_b32_e32 v4, 0x3ff, v0
	s_add_co_i32 s12, s12, s11
	s_cmp_eq_u32 s3, 0
	v_bfe_u32 v5, v0, 10, 10
	s_cselect_b32 s11, ttmp7, s12
	s_cselect_b32 s12, ttmp9, s2
	v_mov_b64_e32 v[2:3], 0
	s_lshl_b32 s3, s12, 4
	s_delay_alu instid0(SALU_CYCLE_1) | instskip(SKIP_1) | instid1(VALU_DEP_2)
	v_dual_lshlrev_b32 v0, 3, v4 :: v_dual_add_nc_u32 v8, s3, v4
	v_lshl_add_u32 v7, s11, 4, v5
	v_lshl_add_u32 v1, v5, 7, v0
	s_wait_kmcnt 0x0
	s_cmp_lt_i32 s10, 1
	s_delay_alu instid0(VALU_DEP_1)
	v_add_nc_u32_e32 v6, 0x1000, v1
	ds_store_b64 v1, v[2:3] offset:4096
	s_cbranch_scc1 .LBB1_7
; %bb.1:
	v_mul_lo_u32 v1, v5, s10
	v_mul_lo_u32 v11, v7, s10
	v_dual_mov_b32 v12, v5 :: v_dual_lshlrev_b32 v9, 7, v5
	v_add_nc_u32_e32 v10, 0x800, v0
	v_cmp_gt_i32_e64 s2, s10, v8
	s_delay_alu instid0(VALU_DEP_3)
	v_dual_mov_b32 v16, v4 :: v_dual_add_nc_u32 v13, v9, v0
	s_add_co_i32 s13, s10, 15
	v_add_nc_u32_e32 v14, v10, v9
	s_lshr_b32 s13, s13, 4
	v_add3_u32 v15, v4, v1, s3
	s_lshl_b32 s14, s10, 4
	v_cmp_gt_i32_e32 vcc_lo, s10, v7
	s_branch .LBB1_3
.LBB1_2:                                ;   in Loop: Header=BB1_3 Depth=1
	s_wait_xcnt 0x0
	s_or_b32 exec_lo, exec_lo, s3
	s_wait_loadcnt 0x0
	ds_store_b64 v14, v[0:1]
	s_wait_dscnt 0x0
	s_barrier_signal -1
	s_barrier_wait -1
	ds_load_b64 v[26:27], v6
	ds_load_b128 v[0:3], v9
	ds_load_2addr_b64 v[18:21], v10 offset1:16
	v_dual_add_nc_u32 v16, 16, v16 :: v_dual_add_nc_u32 v15, s14, v15
	v_add_nc_u32_e32 v12, 16, v12
	s_add_co_i32 s13, s13, -1
	s_delay_alu instid0(SALU_CYCLE_1) | instskip(SKIP_2) | instid1(VALU_DEP_1)
	s_cmp_eq_u32 s13, 0
	s_wait_dscnt 0x0
	v_fmac_f64_e32 v[26:27], v[0:1], v[18:19]
	v_fmac_f64_e32 v[26:27], v[2:3], v[20:21]
	ds_load_2addr_b64 v[0:3], v10 offset0:32 offset1:48
	ds_load_b128 v[18:21], v9 offset:16
	ds_load_b128 v[22:25], v9 offset:32
	s_wait_dscnt 0x1
	v_fmac_f64_e32 v[26:27], v[18:19], v[0:1]
	s_delay_alu instid0(VALU_DEP_1) | instskip(SKIP_3) | instid1(VALU_DEP_1)
	v_fmac_f64_e32 v[26:27], v[20:21], v[2:3]
	ds_load_2addr_b64 v[0:3], v10 offset0:64 offset1:80
	s_wait_dscnt 0x0
	v_fmac_f64_e32 v[26:27], v[22:23], v[0:1]
	v_fmac_f64_e32 v[26:27], v[24:25], v[2:3]
	ds_load_2addr_b64 v[0:3], v10 offset0:96 offset1:112
	ds_load_b128 v[18:21], v9 offset:48
	ds_load_b128 v[22:25], v9 offset:64
	s_wait_dscnt 0x1
	v_fmac_f64_e32 v[26:27], v[18:19], v[0:1]
	s_delay_alu instid0(VALU_DEP_1) | instskip(SKIP_3) | instid1(VALU_DEP_1)
	v_fmac_f64_e32 v[26:27], v[20:21], v[2:3]
	ds_load_2addr_b64 v[0:3], v10 offset0:128 offset1:144
	;; [unrolled: 11-line block ×3, first 2 shown]
	s_wait_dscnt 0x0
	v_fmac_f64_e32 v[26:27], v[22:23], v[0:1]
	v_fmac_f64_e32 v[26:27], v[24:25], v[2:3]
	ds_load_b128 v[0:3], v9 offset:112
	ds_load_2addr_b64 v[18:21], v10 offset0:224 offset1:240
	s_wait_dscnt 0x0
	v_fmac_f64_e32 v[26:27], v[0:1], v[18:19]
	s_delay_alu instid0(VALU_DEP_1)
	v_fmac_f64_e32 v[26:27], v[2:3], v[20:21]
	ds_store_b64 v6, v[26:27]
	s_wait_dscnt 0x0
	s_barrier_signal -1
	s_barrier_wait -1
	s_cbranch_scc1 .LBB1_7
.LBB1_3:                                ; =>This Inner Loop Header: Depth=1
	v_cmp_gt_i32_e64 s3, s10, v16
	v_mov_b64_e32 v[0:1], 0
	v_mov_b64_e32 v[2:3], 0
	s_and_b32 s15, vcc_lo, s3
	s_delay_alu instid0(SALU_CYCLE_1)
	s_and_saveexec_b32 s3, s15
	s_cbranch_execz .LBB1_5
; %bb.4:                                ;   in Loop: Header=BB1_3 Depth=1
	v_add_nc_u32_e32 v2, v11, v16
	global_load_b64 v[2:3], v2, s[6:7] scale_offset
.LBB1_5:                                ;   in Loop: Header=BB1_3 Depth=1
	s_wait_xcnt 0x0
	s_or_b32 exec_lo, exec_lo, s3
	v_cmp_gt_i32_e64 s3, s10, v12
	s_wait_loadcnt 0x0
	ds_store_b64 v13, v[2:3]
	s_and_b32 s15, s2, s3
	s_delay_alu instid0(SALU_CYCLE_1)
	s_and_saveexec_b32 s3, s15
	s_cbranch_execz .LBB1_2
; %bb.6:                                ;   in Loop: Header=BB1_3 Depth=1
	global_load_b64 v[0:1], v15, s[8:9] scale_offset
	s_branch .LBB1_2
.LBB1_7:
	v_max_i32_e32 v0, v7, v8
	s_mov_b32 s2, exec_lo
	s_delay_alu instid0(VALU_DEP_1)
	v_cmpx_gt_i32_e64 s10, v0
	s_cbranch_execz .LBB1_9
; %bb.8:
	s_load_b32 s0, s[0:1], 0x2c
	ds_load_b64 v[0:1], v6
	s_wait_kmcnt 0x0
	s_and_b32 s1, s0, 0xffff
	s_lshr_b32 s0, s0, 16
	v_mad_u32 v2, s12, s1, v4
	v_mad_u32 v3, s11, s0, v5
	s_delay_alu instid0(VALU_DEP_1)
	v_mad_u32 v2, v3, s10, v2
	s_wait_dscnt 0x0
	global_store_b64 v2, v[0:1], s[4:5] scale_offset
.LBB1_9:
	s_endpgm
	.section	.rodata,"a",@progbits
	.p2align	6, 0x0
	.amdhsa_kernel _Z19sharedMatMultKerneliPdS_S_
		.amdhsa_group_segment_fixed_size 6144
		.amdhsa_private_segment_fixed_size 0
		.amdhsa_kernarg_size 288
		.amdhsa_user_sgpr_count 2
		.amdhsa_user_sgpr_dispatch_ptr 0
		.amdhsa_user_sgpr_queue_ptr 0
		.amdhsa_user_sgpr_kernarg_segment_ptr 1
		.amdhsa_user_sgpr_dispatch_id 0
		.amdhsa_user_sgpr_kernarg_preload_length 0
		.amdhsa_user_sgpr_kernarg_preload_offset 0
		.amdhsa_user_sgpr_private_segment_size 0
		.amdhsa_wavefront_size32 1
		.amdhsa_uses_dynamic_stack 0
		.amdhsa_enable_private_segment 0
		.amdhsa_system_sgpr_workgroup_id_x 1
		.amdhsa_system_sgpr_workgroup_id_y 1
		.amdhsa_system_sgpr_workgroup_id_z 0
		.amdhsa_system_sgpr_workgroup_info 0
		.amdhsa_system_vgpr_workitem_id 1
		.amdhsa_next_free_vgpr 28
		.amdhsa_next_free_sgpr 16
		.amdhsa_named_barrier_count 0
		.amdhsa_reserve_vcc 1
		.amdhsa_float_round_mode_32 0
		.amdhsa_float_round_mode_16_64 0
		.amdhsa_float_denorm_mode_32 3
		.amdhsa_float_denorm_mode_16_64 3
		.amdhsa_fp16_overflow 0
		.amdhsa_memory_ordered 1
		.amdhsa_forward_progress 1
		.amdhsa_inst_pref_size 7
		.amdhsa_round_robin_scheduling 0
		.amdhsa_exception_fp_ieee_invalid_op 0
		.amdhsa_exception_fp_denorm_src 0
		.amdhsa_exception_fp_ieee_div_zero 0
		.amdhsa_exception_fp_ieee_overflow 0
		.amdhsa_exception_fp_ieee_underflow 0
		.amdhsa_exception_fp_ieee_inexact 0
		.amdhsa_exception_int_div_zero 0
	.end_amdhsa_kernel
	.text
.Lfunc_end1:
	.size	_Z19sharedMatMultKerneliPdS_S_, .Lfunc_end1-_Z19sharedMatMultKerneliPdS_S_
                                        ; -- End function
	.set _Z19sharedMatMultKerneliPdS_S_.num_vgpr, 28
	.set _Z19sharedMatMultKerneliPdS_S_.num_agpr, 0
	.set _Z19sharedMatMultKerneliPdS_S_.numbered_sgpr, 16
	.set _Z19sharedMatMultKerneliPdS_S_.num_named_barrier, 0
	.set _Z19sharedMatMultKerneliPdS_S_.private_seg_size, 0
	.set _Z19sharedMatMultKerneliPdS_S_.uses_vcc, 1
	.set _Z19sharedMatMultKerneliPdS_S_.uses_flat_scratch, 0
	.set _Z19sharedMatMultKerneliPdS_S_.has_dyn_sized_stack, 0
	.set _Z19sharedMatMultKerneliPdS_S_.has_recursion, 0
	.set _Z19sharedMatMultKerneliPdS_S_.has_indirect_call, 0
	.section	.AMDGPU.csdata,"",@progbits
; Kernel info:
; codeLenInByte = 812
; TotalNumSgprs: 18
; NumVgprs: 28
; ScratchSize: 0
; MemoryBound: 0
; FloatMode: 240
; IeeeMode: 1
; LDSByteSize: 6144 bytes/workgroup (compile time only)
; SGPRBlocks: 0
; VGPRBlocks: 1
; NumSGPRsForWavesPerEU: 18
; NumVGPRsForWavesPerEU: 28
; NamedBarCnt: 0
; Occupancy: 16
; WaveLimiterHint : 0
; COMPUTE_PGM_RSRC2:SCRATCH_EN: 0
; COMPUTE_PGM_RSRC2:USER_SGPR: 2
; COMPUTE_PGM_RSRC2:TRAP_HANDLER: 0
; COMPUTE_PGM_RSRC2:TGID_X_EN: 1
; COMPUTE_PGM_RSRC2:TGID_Y_EN: 1
; COMPUTE_PGM_RSRC2:TGID_Z_EN: 0
; COMPUTE_PGM_RSRC2:TIDIG_COMP_CNT: 1
	.section	.text._ZN4RAJA28launch_new_reduce_global_fcnIZ4mainEUlNS_14LaunchContextTINS_3hip33LaunchContextIndicesAndDimsPolicyINS2_14IndicesAndDimsILb0ELb0ELb0ELb0EEEEEEEE_NS_4expt15ForallParamPackIJEEEEEvT_T0_,"axG",@progbits,_ZN4RAJA28launch_new_reduce_global_fcnIZ4mainEUlNS_14LaunchContextTINS_3hip33LaunchContextIndicesAndDimsPolicyINS2_14IndicesAndDimsILb0ELb0ELb0ELb0EEEEEEEE_NS_4expt15ForallParamPackIJEEEEEvT_T0_,comdat
	.globl	_ZN4RAJA28launch_new_reduce_global_fcnIZ4mainEUlNS_14LaunchContextTINS_3hip33LaunchContextIndicesAndDimsPolicyINS2_14IndicesAndDimsILb0ELb0ELb0ELb0EEEEEEEE_NS_4expt15ForallParamPackIJEEEEEvT_T0_ ; -- Begin function _ZN4RAJA28launch_new_reduce_global_fcnIZ4mainEUlNS_14LaunchContextTINS_3hip33LaunchContextIndicesAndDimsPolicyINS2_14IndicesAndDimsILb0ELb0ELb0ELb0EEEEEEEE_NS_4expt15ForallParamPackIJEEEEEvT_T0_
	.p2align	8
	.type	_ZN4RAJA28launch_new_reduce_global_fcnIZ4mainEUlNS_14LaunchContextTINS_3hip33LaunchContextIndicesAndDimsPolicyINS2_14IndicesAndDimsILb0ELb0ELb0ELb0EEEEEEEE_NS_4expt15ForallParamPackIJEEEEEvT_T0_,@function
_ZN4RAJA28launch_new_reduce_global_fcnIZ4mainEUlNS_14LaunchContextTINS_3hip33LaunchContextIndicesAndDimsPolicyINS2_14IndicesAndDimsILb0ELb0ELb0ELb0EEEEEEEE_NS_4expt15ForallParamPackIJEEEEEvT_T0_: ; @_ZN4RAJA28launch_new_reduce_global_fcnIZ4mainEUlNS_14LaunchContextTINS_3hip33LaunchContextIndicesAndDimsPolicyINS2_14IndicesAndDimsILb0ELb0ELb0ELb0EEEEEEEE_NS_4expt15ForallParamPackIJEEEEEvT_T0_
; %bb.0:
	s_clause 0x1
	s_load_u16 s3, s[0:1], 0x10e
	s_load_b128 s[4:7], s[0:1], 0x0
	s_bfe_u32 s2, ttmp6, 0x40010
	s_bfe_u32 s9, ttmp6, 0x40004
	s_add_co_i32 s2, s2, 1
	v_bfe_u32 v4, v0, 10, 10
	s_mul_i32 s8, ttmp7, s2
	s_getreg_b32 s2, hwreg(HW_REG_IB_STS2, 6, 4)
	v_mov_b32_e32 v5, 0
	s_add_co_i32 s9, s9, s8
	s_cmp_eq_u32 s2, 0
	s_cselect_b32 s8, ttmp7, s9
	s_wait_kmcnt 0x0
	v_mad_nc_u64_u32 v[2:3], s3, s8, v[4:5]
	s_sub_nc_u64 s[6:7], s[6:7], s[4:5]
	s_mov_b32 s3, exec_lo
	s_delay_alu instid0(VALU_DEP_1)
	v_cmpx_gt_i64_e64 s[6:7], v[2:3]
	s_cbranch_execz .LBB2_5
; %bb.1:
	s_add_nc_u64 s[6:7], s[0:1], 0x100
	s_bfe_u32 s5, ttmp6, 0x4000c
	s_load_b32 s3, s[6:7], 0xc
	s_load_b128 s[8:11], s[0:1], 0x10
	s_add_co_i32 s5, s5, 1
	s_wait_xcnt 0x0
	s_and_b32 s6, ttmp6, 15
	s_mul_i32 s5, ttmp9, s5
	v_and_b32_e32 v4, 0x3ff, v0
	s_add_co_i32 s6, s6, s5
	s_wait_kmcnt 0x0
	s_and_b32 s3, s3, 0xffff
	s_cmp_eq_u32 s2, 0
	s_cselect_b32 s2, ttmp9, s6
	s_delay_alu instid0(SALU_CYCLE_1)
	v_mad_nc_u64_u32 v[0:1], s3, s2, v[4:5]
	s_sub_nc_u64 s[2:3], s[10:11], s[8:9]
	s_delay_alu instid0(VALU_DEP_1) | instid1(SALU_CYCLE_1)
	v_cmp_gt_i64_e32 vcc_lo, s[2:3], v[0:1]
	s_and_b32 exec_lo, exec_lo, vcc_lo
	s_cbranch_execz .LBB2_5
; %bb.2:
	s_clause 0x1
	s_load_b128 s[20:23], s[0:1], 0x38
	s_load_b128 s[24:27], s[0:1], 0x80
	v_dual_add_nc_u32 v0, s8, v0 :: v_dual_add_nc_u32 v2, s4, v2
	s_clause 0x3
	s_load_b64 s[16:17], s[0:1], 0x20
	s_load_b64 s[18:19], s[0:1], 0x68
	;; [unrolled: 1-line block ×3, first 2 shown]
	s_load_b128 s[4:7], s[0:1], 0xc8
	v_mov_b64_e32 v[4:5], 0
	v_dual_ashrrev_i32 v1, 31, v0 :: v_dual_ashrrev_i32 v3, 31, v2
	s_wait_kmcnt 0x0
	s_delay_alu instid0(VALU_DEP_1) | instskip(NEXT) | instid1(VALU_DEP_2)
	v_mul_u64_e32 v[6:7], s[20:21], v[0:1]
	v_mul_u64_e32 v[8:9], s[26:27], v[2:3]
	s_mul_u64 s[0:1], s[24:25], 24
	s_lshl_b64 s[8:9], s[24:25], 5
	s_mul_u64 s[10:11], s[22:23], 24
	s_lshl_b64 s[12:13], s[22:23], 5
	s_lshl_b64 s[14:15], s[24:25], 4
	;; [unrolled: 1-line block ×3, first 2 shown]
	s_delay_alu instid0(VALU_DEP_2) | instskip(NEXT) | instid1(VALU_DEP_2)
	v_lshl_add_u64 v[6:7], v[6:7], 3, s[16:17]
	v_lshl_add_u64 v[8:9], v[8:9], 3, s[18:19]
	s_lshl_b64 s[16:17], s[22:23], 4
	s_lshl_b64 s[18:19], s[24:25], 3
	s_movk_i32 s22, 0x3e8
.LBB2_3:                                ; =>This Inner Loop Header: Depth=1
	global_load_b64 v[10:11], v[6:7], off
	global_load_b64 v[12:13], v[8:9], off
	v_add_nc_u64_e32 v[14:15], s[20:21], v[6:7]
	v_add_nc_u64_e32 v[16:17], s[18:19], v[8:9]
	s_add_co_i32 s22, s22, -4
	global_load_b64 v[18:19], v[14:15], off
	global_load_b64 v[20:21], v[16:17], off
	s_wait_xcnt 0x1
	v_add_nc_u64_e32 v[14:15], s[16:17], v[6:7]
	s_wait_xcnt 0x0
	v_add_nc_u64_e32 v[16:17], s[14:15], v[8:9]
	s_cmp_lg_u32 s22, 0
	global_load_b64 v[22:23], v[14:15], off
	global_load_b64 v[24:25], v[16:17], off
	s_wait_xcnt 0x1
	v_add_nc_u64_e32 v[14:15], s[10:11], v[6:7]
	s_wait_xcnt 0x0
	v_add_nc_u64_e32 v[16:17], s[0:1], v[8:9]
	v_add_nc_u64_e32 v[8:9], s[8:9], v[8:9]
	;; [unrolled: 1-line block ×3, first 2 shown]
	global_load_b64 v[26:27], v[14:15], off
	global_load_b64 v[28:29], v[16:17], off
	s_wait_loadcnt 0x6
	v_fmac_f64_e32 v[4:5], v[10:11], v[12:13]
	s_wait_loadcnt 0x4
	s_delay_alu instid0(VALU_DEP_1) | instskip(SKIP_1) | instid1(VALU_DEP_1)
	v_fmac_f64_e32 v[4:5], v[18:19], v[20:21]
	s_wait_loadcnt 0x2
	v_fmac_f64_e32 v[4:5], v[22:23], v[24:25]
	s_wait_loadcnt 0x0
	s_delay_alu instid0(VALU_DEP_1)
	v_fmac_f64_e32 v[4:5], v[26:27], v[28:29]
	s_cbranch_scc1 .LBB2_3
; %bb.4:
	v_mul_u64_e32 v[2:3], s[6:7], v[2:3]
	v_mul_u64_e32 v[0:1], s[4:5], v[0:1]
	s_delay_alu instid0(VALU_DEP_2) | instskip(NEXT) | instid1(VALU_DEP_1)
	v_lshl_add_u64 v[2:3], v[2:3], 3, s[2:3]
	v_lshl_add_u64 v[0:1], v[0:1], 3, v[2:3]
	global_store_b64 v[0:1], v[4:5], off
.LBB2_5:
	s_endpgm
	.section	.rodata,"a",@progbits
	.p2align	6, 0x0
	.amdhsa_kernel _ZN4RAJA28launch_new_reduce_global_fcnIZ4mainEUlNS_14LaunchContextTINS_3hip33LaunchContextIndicesAndDimsPolicyINS2_14IndicesAndDimsILb0ELb0ELb0ELb0EEEEEEEE_NS_4expt15ForallParamPackIJEEEEEvT_T0_
		.amdhsa_group_segment_fixed_size 0
		.amdhsa_private_segment_fixed_size 0
		.amdhsa_kernarg_size 512
		.amdhsa_user_sgpr_count 2
		.amdhsa_user_sgpr_dispatch_ptr 0
		.amdhsa_user_sgpr_queue_ptr 0
		.amdhsa_user_sgpr_kernarg_segment_ptr 1
		.amdhsa_user_sgpr_dispatch_id 0
		.amdhsa_user_sgpr_kernarg_preload_length 0
		.amdhsa_user_sgpr_kernarg_preload_offset 0
		.amdhsa_user_sgpr_private_segment_size 0
		.amdhsa_wavefront_size32 1
		.amdhsa_uses_dynamic_stack 0
		.amdhsa_enable_private_segment 0
		.amdhsa_system_sgpr_workgroup_id_x 1
		.amdhsa_system_sgpr_workgroup_id_y 1
		.amdhsa_system_sgpr_workgroup_id_z 0
		.amdhsa_system_sgpr_workgroup_info 0
		.amdhsa_system_vgpr_workitem_id 1
		.amdhsa_next_free_vgpr 30
		.amdhsa_next_free_sgpr 28
		.amdhsa_named_barrier_count 0
		.amdhsa_reserve_vcc 1
		.amdhsa_float_round_mode_32 0
		.amdhsa_float_round_mode_16_64 0
		.amdhsa_float_denorm_mode_32 3
		.amdhsa_float_denorm_mode_16_64 3
		.amdhsa_fp16_overflow 0
		.amdhsa_memory_ordered 1
		.amdhsa_forward_progress 1
		.amdhsa_inst_pref_size 5
		.amdhsa_round_robin_scheduling 0
		.amdhsa_exception_fp_ieee_invalid_op 0
		.amdhsa_exception_fp_denorm_src 0
		.amdhsa_exception_fp_ieee_div_zero 0
		.amdhsa_exception_fp_ieee_overflow 0
		.amdhsa_exception_fp_ieee_underflow 0
		.amdhsa_exception_fp_ieee_inexact 0
		.amdhsa_exception_int_div_zero 0
	.end_amdhsa_kernel
	.section	.text._ZN4RAJA28launch_new_reduce_global_fcnIZ4mainEUlNS_14LaunchContextTINS_3hip33LaunchContextIndicesAndDimsPolicyINS2_14IndicesAndDimsILb0ELb0ELb0ELb0EEEEEEEE_NS_4expt15ForallParamPackIJEEEEEvT_T0_,"axG",@progbits,_ZN4RAJA28launch_new_reduce_global_fcnIZ4mainEUlNS_14LaunchContextTINS_3hip33LaunchContextIndicesAndDimsPolicyINS2_14IndicesAndDimsILb0ELb0ELb0ELb0EEEEEEEE_NS_4expt15ForallParamPackIJEEEEEvT_T0_,comdat
.Lfunc_end2:
	.size	_ZN4RAJA28launch_new_reduce_global_fcnIZ4mainEUlNS_14LaunchContextTINS_3hip33LaunchContextIndicesAndDimsPolicyINS2_14IndicesAndDimsILb0ELb0ELb0ELb0EEEEEEEE_NS_4expt15ForallParamPackIJEEEEEvT_T0_, .Lfunc_end2-_ZN4RAJA28launch_new_reduce_global_fcnIZ4mainEUlNS_14LaunchContextTINS_3hip33LaunchContextIndicesAndDimsPolicyINS2_14IndicesAndDimsILb0ELb0ELb0ELb0EEEEEEEE_NS_4expt15ForallParamPackIJEEEEEvT_T0_
                                        ; -- End function
	.set _ZN4RAJA28launch_new_reduce_global_fcnIZ4mainEUlNS_14LaunchContextTINS_3hip33LaunchContextIndicesAndDimsPolicyINS2_14IndicesAndDimsILb0ELb0ELb0ELb0EEEEEEEE_NS_4expt15ForallParamPackIJEEEEEvT_T0_.num_vgpr, 30
	.set _ZN4RAJA28launch_new_reduce_global_fcnIZ4mainEUlNS_14LaunchContextTINS_3hip33LaunchContextIndicesAndDimsPolicyINS2_14IndicesAndDimsILb0ELb0ELb0ELb0EEEEEEEE_NS_4expt15ForallParamPackIJEEEEEvT_T0_.num_agpr, 0
	.set _ZN4RAJA28launch_new_reduce_global_fcnIZ4mainEUlNS_14LaunchContextTINS_3hip33LaunchContextIndicesAndDimsPolicyINS2_14IndicesAndDimsILb0ELb0ELb0ELb0EEEEEEEE_NS_4expt15ForallParamPackIJEEEEEvT_T0_.numbered_sgpr, 28
	.set _ZN4RAJA28launch_new_reduce_global_fcnIZ4mainEUlNS_14LaunchContextTINS_3hip33LaunchContextIndicesAndDimsPolicyINS2_14IndicesAndDimsILb0ELb0ELb0ELb0EEEEEEEE_NS_4expt15ForallParamPackIJEEEEEvT_T0_.num_named_barrier, 0
	.set _ZN4RAJA28launch_new_reduce_global_fcnIZ4mainEUlNS_14LaunchContextTINS_3hip33LaunchContextIndicesAndDimsPolicyINS2_14IndicesAndDimsILb0ELb0ELb0ELb0EEEEEEEE_NS_4expt15ForallParamPackIJEEEEEvT_T0_.private_seg_size, 0
	.set _ZN4RAJA28launch_new_reduce_global_fcnIZ4mainEUlNS_14LaunchContextTINS_3hip33LaunchContextIndicesAndDimsPolicyINS2_14IndicesAndDimsILb0ELb0ELb0ELb0EEEEEEEE_NS_4expt15ForallParamPackIJEEEEEvT_T0_.uses_vcc, 1
	.set _ZN4RAJA28launch_new_reduce_global_fcnIZ4mainEUlNS_14LaunchContextTINS_3hip33LaunchContextIndicesAndDimsPolicyINS2_14IndicesAndDimsILb0ELb0ELb0ELb0EEEEEEEE_NS_4expt15ForallParamPackIJEEEEEvT_T0_.uses_flat_scratch, 0
	.set _ZN4RAJA28launch_new_reduce_global_fcnIZ4mainEUlNS_14LaunchContextTINS_3hip33LaunchContextIndicesAndDimsPolicyINS2_14IndicesAndDimsILb0ELb0ELb0ELb0EEEEEEEE_NS_4expt15ForallParamPackIJEEEEEvT_T0_.has_dyn_sized_stack, 0
	.set _ZN4RAJA28launch_new_reduce_global_fcnIZ4mainEUlNS_14LaunchContextTINS_3hip33LaunchContextIndicesAndDimsPolicyINS2_14IndicesAndDimsILb0ELb0ELb0ELb0EEEEEEEE_NS_4expt15ForallParamPackIJEEEEEvT_T0_.has_recursion, 0
	.set _ZN4RAJA28launch_new_reduce_global_fcnIZ4mainEUlNS_14LaunchContextTINS_3hip33LaunchContextIndicesAndDimsPolicyINS2_14IndicesAndDimsILb0ELb0ELb0ELb0EEEEEEEE_NS_4expt15ForallParamPackIJEEEEEvT_T0_.has_indirect_call, 0
	.section	.AMDGPU.csdata,"",@progbits
; Kernel info:
; codeLenInByte = 616
; TotalNumSgprs: 30
; NumVgprs: 30
; ScratchSize: 0
; MemoryBound: 1
; FloatMode: 240
; IeeeMode: 1
; LDSByteSize: 0 bytes/workgroup (compile time only)
; SGPRBlocks: 0
; VGPRBlocks: 1
; NumSGPRsForWavesPerEU: 30
; NumVGPRsForWavesPerEU: 30
; NamedBarCnt: 0
; Occupancy: 16
; WaveLimiterHint : 0
; COMPUTE_PGM_RSRC2:SCRATCH_EN: 0
; COMPUTE_PGM_RSRC2:USER_SGPR: 2
; COMPUTE_PGM_RSRC2:TRAP_HANDLER: 0
; COMPUTE_PGM_RSRC2:TGID_X_EN: 1
; COMPUTE_PGM_RSRC2:TGID_Y_EN: 1
; COMPUTE_PGM_RSRC2:TGID_Z_EN: 0
; COMPUTE_PGM_RSRC2:TIDIG_COMP_CNT: 1
	.section	.text._ZN4RAJA28launch_new_reduce_global_fcnIZ4mainEUlNS_14LaunchContextTINS_3hip33LaunchContextIndicesAndDimsPolicyINS2_14IndicesAndDimsILb0ELb0ELb0ELb0EEEEEEEE0_NS_4expt15ForallParamPackIJEEEEEvT_T0_,"axG",@progbits,_ZN4RAJA28launch_new_reduce_global_fcnIZ4mainEUlNS_14LaunchContextTINS_3hip33LaunchContextIndicesAndDimsPolicyINS2_14IndicesAndDimsILb0ELb0ELb0ELb0EEEEEEEE0_NS_4expt15ForallParamPackIJEEEEEvT_T0_,comdat
	.globl	_ZN4RAJA28launch_new_reduce_global_fcnIZ4mainEUlNS_14LaunchContextTINS_3hip33LaunchContextIndicesAndDimsPolicyINS2_14IndicesAndDimsILb0ELb0ELb0ELb0EEEEEEEE0_NS_4expt15ForallParamPackIJEEEEEvT_T0_ ; -- Begin function _ZN4RAJA28launch_new_reduce_global_fcnIZ4mainEUlNS_14LaunchContextTINS_3hip33LaunchContextIndicesAndDimsPolicyINS2_14IndicesAndDimsILb0ELb0ELb0ELb0EEEEEEEE0_NS_4expt15ForallParamPackIJEEEEEvT_T0_
	.p2align	8
	.type	_ZN4RAJA28launch_new_reduce_global_fcnIZ4mainEUlNS_14LaunchContextTINS_3hip33LaunchContextIndicesAndDimsPolicyINS2_14IndicesAndDimsILb0ELb0ELb0ELb0EEEEEEEE0_NS_4expt15ForallParamPackIJEEEEEvT_T0_,@function
_ZN4RAJA28launch_new_reduce_global_fcnIZ4mainEUlNS_14LaunchContextTINS_3hip33LaunchContextIndicesAndDimsPolicyINS2_14IndicesAndDimsILb0ELb0ELb0ELb0EEEEEEEE0_NS_4expt15ForallParamPackIJEEEEEvT_T0_: ; @_ZN4RAJA28launch_new_reduce_global_fcnIZ4mainEUlNS_14LaunchContextTINS_3hip33LaunchContextIndicesAndDimsPolicyINS2_14IndicesAndDimsILb0ELb0ELb0ELb0EEEEEEEE0_NS_4expt15ForallParamPackIJEEEEEvT_T0_
; %bb.0:
	s_load_b128 s[12:15], s[0:1], 0x0
	s_bfe_u32 s2, ttmp6, 0x4000c
	s_and_b32 s3, ttmp6, 15
	s_add_co_i32 s2, s2, 1
	s_getreg_b32 s4, hwreg(HW_REG_IB_STS2, 6, 4)
	s_mul_i32 s2, ttmp9, s2
	s_mov_b32 s25, 0
	s_add_co_i32 s5, s3, s2
	s_cmp_eq_u32 s4, 0
	s_cselect_b32 s24, ttmp9, s5
	s_wait_kmcnt 0x0
	s_sub_nc_u64 s[2:3], s[14:15], s[12:13]
	s_delay_alu instid0(SALU_CYCLE_1)
	v_cmp_le_i64_e64 s2, s[2:3], s[24:25]
	s_and_b32 vcc_lo, exec_lo, s2
	s_cbranch_vccnz .LBB3_6
; %bb.1:
	s_load_b128 s[4:7], s[0:1], 0x10
	v_mov_b32_e32 v1, 0
	s_wait_kmcnt 0x0
	s_sub_nc_u64 s[2:3], s[6:7], s[4:5]
	s_mov_b32 s5, exec_lo
	s_delay_alu instid0(VALU_DEP_1)
	v_cmpx_gt_i64_e64 s[2:3], v[0:1]
	s_cbranch_execz .LBB3_6
; %bb.2:
	s_clause 0x6
	s_load_b32 s5, s[0:1], 0x10c
	s_load_b128 s[16:19], s[0:1], 0x80
	s_load_b128 s[8:11], s[0:1], 0xc8
	;; [unrolled: 1-line block ×3, first 2 shown]
	s_load_b64 s[28:29], s[0:1], 0x68
	s_load_b64 s[30:31], s[0:1], 0xb0
	;; [unrolled: 1-line block ×3, first 2 shown]
	s_add_co_i32 s12, s24, s12
	v_mov_b64_e32 v[2:3], v[0:1]
	s_ashr_i32 s13, s12, 31
	v_add_nc_u32_e32 v8, s4, v0
	s_wait_xcnt 0x0
	s_mov_b32 s1, 0
	s_wait_kmcnt 0x0
	s_and_b32 s0, s5, 0xffff
	s_mul_u64 s[34:35], s[18:19], s[12:13]
	s_mul_u64 s[36:37], s[10:11], s[12:13]
	s_lshl_b64 s[34:35], s[34:35], 3
	s_lshl_b64 s[36:37], s[36:37], 3
	s_mul_u64 s[10:11], s[16:17], 24
	s_lshl_b64 s[12:13], s[16:17], 5
	s_mul_u64 s[14:15], s[22:23], 24
	s_lshl_b64 s[18:19], s[20:21], 3
	s_lshl_b64 s[20:21], s[22:23], 5
	;; [unrolled: 1-line block ×4, first 2 shown]
	s_add_nc_u64 s[28:29], s[28:29], s[34:35]
	s_add_nc_u64 s[30:31], s[30:31], s[36:37]
	s_lshl_b64 s[16:17], s[16:17], 3
	s_lshl_b64 s[22:23], s[22:23], 3
	s_mov_b32 s5, s1
.LBB3_3:                                ; =>This Loop Header: Depth=1
                                        ;     Child Loop BB3_4 Depth 2
	v_mad_nc_u64_u32 v[6:7], s18, v8, s[6:7]
	v_ashrrev_i32_e32 v4, 31, v8
	s_movk_i32 s33, 0x3e8
	s_mov_b64 s[34:35], s[28:29]
	s_delay_alu instid0(VALU_DEP_2) | instskip(NEXT) | instid1(VALU_DEP_1)
	v_mad_u32 v0, s19, v8, v7
	v_mad_u32 v7, s18, v4, v0
	v_mov_b64_e32 v[4:5], 0
.LBB3_4:                                ;   Parent Loop BB3_3 Depth=1
                                        ; =>  This Inner Loop Header: Depth=2
	global_load_b64 v[10:11], v[6:7], off
	global_load_b64 v[12:13], v1, s[34:35]
	s_wait_xcnt 0x2
	v_add_nc_u64_e32 v[14:15], s[22:23], v[6:7]
	s_add_nc_u64 s[36:37], s[34:35], s[16:17]
	s_add_co_i32 s33, s33, -4
	global_load_b64 v[16:17], v1, s[36:37]
	global_load_b64 v[18:19], v[14:15], off
	s_wait_xcnt 0x0
	v_add_nc_u64_e32 v[14:15], s[26:27], v[6:7]
	s_add_nc_u64 s[36:37], s[34:35], s[24:25]
	s_cmp_lg_u32 s33, 0
	global_load_b64 v[20:21], v1, s[36:37]
	global_load_b64 v[22:23], v[14:15], off
	s_wait_xcnt 0x0
	v_add_nc_u64_e32 v[14:15], s[14:15], v[6:7]
	s_add_nc_u64 s[36:37], s[34:35], s[10:11]
	v_add_nc_u64_e32 v[6:7], s[20:21], v[6:7]
	global_load_b64 v[24:25], v1, s[36:37]
	global_load_b64 v[26:27], v[14:15], off
	s_add_nc_u64 s[34:35], s[34:35], s[12:13]
	s_wait_loadcnt 0x6
	v_fmac_f64_e32 v[4:5], v[10:11], v[12:13]
	s_wait_loadcnt 0x4
	s_delay_alu instid0(VALU_DEP_1) | instskip(SKIP_1) | instid1(VALU_DEP_1)
	v_fmac_f64_e32 v[4:5], v[18:19], v[16:17]
	s_wait_loadcnt 0x2
	v_fmac_f64_e32 v[4:5], v[22:23], v[20:21]
	s_wait_loadcnt 0x0
	s_delay_alu instid0(VALU_DEP_1)
	v_fmac_f64_e32 v[4:5], v[26:27], v[24:25]
	s_cbranch_scc1 .LBB3_4
; %bb.5:                                ;   in Loop: Header=BB3_3 Depth=1
	v_dual_add_nc_u32 v6, s4, v2 :: v_dual_add_nc_u32 v8, s0, v8
	v_add_nc_u64_e32 v[2:3], s[0:1], v[2:3]
	s_delay_alu instid0(VALU_DEP_2) | instskip(NEXT) | instid1(VALU_DEP_2)
	v_ashrrev_i32_e32 v7, 31, v6
	v_cmp_le_i64_e32 vcc_lo, s[2:3], v[2:3]
	s_delay_alu instid0(VALU_DEP_2) | instskip(SKIP_1) | instid1(VALU_DEP_1)
	v_mul_u64_e32 v[6:7], s[8:9], v[6:7]
	s_or_b32 s5, vcc_lo, s5
	v_lshl_add_u64 v[6:7], v[6:7], 3, s[30:31]
	global_store_b64 v[6:7], v[4:5], off
	s_wait_xcnt 0x0
	s_and_not1_b32 exec_lo, exec_lo, s5
	s_cbranch_execnz .LBB3_3
.LBB3_6:
	s_endpgm
	.section	.rodata,"a",@progbits
	.p2align	6, 0x0
	.amdhsa_kernel _ZN4RAJA28launch_new_reduce_global_fcnIZ4mainEUlNS_14LaunchContextTINS_3hip33LaunchContextIndicesAndDimsPolicyINS2_14IndicesAndDimsILb0ELb0ELb0ELb0EEEEEEEE0_NS_4expt15ForallParamPackIJEEEEEvT_T0_
		.amdhsa_group_segment_fixed_size 0
		.amdhsa_private_segment_fixed_size 0
		.amdhsa_kernarg_size 512
		.amdhsa_user_sgpr_count 2
		.amdhsa_user_sgpr_dispatch_ptr 0
		.amdhsa_user_sgpr_queue_ptr 0
		.amdhsa_user_sgpr_kernarg_segment_ptr 1
		.amdhsa_user_sgpr_dispatch_id 0
		.amdhsa_user_sgpr_kernarg_preload_length 0
		.amdhsa_user_sgpr_kernarg_preload_offset 0
		.amdhsa_user_sgpr_private_segment_size 0
		.amdhsa_wavefront_size32 1
		.amdhsa_uses_dynamic_stack 0
		.amdhsa_enable_private_segment 0
		.amdhsa_system_sgpr_workgroup_id_x 1
		.amdhsa_system_sgpr_workgroup_id_y 0
		.amdhsa_system_sgpr_workgroup_id_z 0
		.amdhsa_system_sgpr_workgroup_info 0
		.amdhsa_system_vgpr_workitem_id 0
		.amdhsa_next_free_vgpr 28
		.amdhsa_next_free_sgpr 38
		.amdhsa_named_barrier_count 0
		.amdhsa_reserve_vcc 1
		.amdhsa_float_round_mode_32 0
		.amdhsa_float_round_mode_16_64 0
		.amdhsa_float_denorm_mode_32 3
		.amdhsa_float_denorm_mode_16_64 3
		.amdhsa_fp16_overflow 0
		.amdhsa_memory_ordered 1
		.amdhsa_forward_progress 1
		.amdhsa_inst_pref_size 5
		.amdhsa_round_robin_scheduling 0
		.amdhsa_exception_fp_ieee_invalid_op 0
		.amdhsa_exception_fp_denorm_src 0
		.amdhsa_exception_fp_ieee_div_zero 0
		.amdhsa_exception_fp_ieee_overflow 0
		.amdhsa_exception_fp_ieee_underflow 0
		.amdhsa_exception_fp_ieee_inexact 0
		.amdhsa_exception_int_div_zero 0
	.end_amdhsa_kernel
	.section	.text._ZN4RAJA28launch_new_reduce_global_fcnIZ4mainEUlNS_14LaunchContextTINS_3hip33LaunchContextIndicesAndDimsPolicyINS2_14IndicesAndDimsILb0ELb0ELb0ELb0EEEEEEEE0_NS_4expt15ForallParamPackIJEEEEEvT_T0_,"axG",@progbits,_ZN4RAJA28launch_new_reduce_global_fcnIZ4mainEUlNS_14LaunchContextTINS_3hip33LaunchContextIndicesAndDimsPolicyINS2_14IndicesAndDimsILb0ELb0ELb0ELb0EEEEEEEE0_NS_4expt15ForallParamPackIJEEEEEvT_T0_,comdat
.Lfunc_end3:
	.size	_ZN4RAJA28launch_new_reduce_global_fcnIZ4mainEUlNS_14LaunchContextTINS_3hip33LaunchContextIndicesAndDimsPolicyINS2_14IndicesAndDimsILb0ELb0ELb0ELb0EEEEEEEE0_NS_4expt15ForallParamPackIJEEEEEvT_T0_, .Lfunc_end3-_ZN4RAJA28launch_new_reduce_global_fcnIZ4mainEUlNS_14LaunchContextTINS_3hip33LaunchContextIndicesAndDimsPolicyINS2_14IndicesAndDimsILb0ELb0ELb0ELb0EEEEEEEE0_NS_4expt15ForallParamPackIJEEEEEvT_T0_
                                        ; -- End function
	.set _ZN4RAJA28launch_new_reduce_global_fcnIZ4mainEUlNS_14LaunchContextTINS_3hip33LaunchContextIndicesAndDimsPolicyINS2_14IndicesAndDimsILb0ELb0ELb0ELb0EEEEEEEE0_NS_4expt15ForallParamPackIJEEEEEvT_T0_.num_vgpr, 28
	.set _ZN4RAJA28launch_new_reduce_global_fcnIZ4mainEUlNS_14LaunchContextTINS_3hip33LaunchContextIndicesAndDimsPolicyINS2_14IndicesAndDimsILb0ELb0ELb0ELb0EEEEEEEE0_NS_4expt15ForallParamPackIJEEEEEvT_T0_.num_agpr, 0
	.set _ZN4RAJA28launch_new_reduce_global_fcnIZ4mainEUlNS_14LaunchContextTINS_3hip33LaunchContextIndicesAndDimsPolicyINS2_14IndicesAndDimsILb0ELb0ELb0ELb0EEEEEEEE0_NS_4expt15ForallParamPackIJEEEEEvT_T0_.numbered_sgpr, 38
	.set _ZN4RAJA28launch_new_reduce_global_fcnIZ4mainEUlNS_14LaunchContextTINS_3hip33LaunchContextIndicesAndDimsPolicyINS2_14IndicesAndDimsILb0ELb0ELb0ELb0EEEEEEEE0_NS_4expt15ForallParamPackIJEEEEEvT_T0_.num_named_barrier, 0
	.set _ZN4RAJA28launch_new_reduce_global_fcnIZ4mainEUlNS_14LaunchContextTINS_3hip33LaunchContextIndicesAndDimsPolicyINS2_14IndicesAndDimsILb0ELb0ELb0ELb0EEEEEEEE0_NS_4expt15ForallParamPackIJEEEEEvT_T0_.private_seg_size, 0
	.set _ZN4RAJA28launch_new_reduce_global_fcnIZ4mainEUlNS_14LaunchContextTINS_3hip33LaunchContextIndicesAndDimsPolicyINS2_14IndicesAndDimsILb0ELb0ELb0ELb0EEEEEEEE0_NS_4expt15ForallParamPackIJEEEEEvT_T0_.uses_vcc, 1
	.set _ZN4RAJA28launch_new_reduce_global_fcnIZ4mainEUlNS_14LaunchContextTINS_3hip33LaunchContextIndicesAndDimsPolicyINS2_14IndicesAndDimsILb0ELb0ELb0ELb0EEEEEEEE0_NS_4expt15ForallParamPackIJEEEEEvT_T0_.uses_flat_scratch, 0
	.set _ZN4RAJA28launch_new_reduce_global_fcnIZ4mainEUlNS_14LaunchContextTINS_3hip33LaunchContextIndicesAndDimsPolicyINS2_14IndicesAndDimsILb0ELb0ELb0ELb0EEEEEEEE0_NS_4expt15ForallParamPackIJEEEEEvT_T0_.has_dyn_sized_stack, 0
	.set _ZN4RAJA28launch_new_reduce_global_fcnIZ4mainEUlNS_14LaunchContextTINS_3hip33LaunchContextIndicesAndDimsPolicyINS2_14IndicesAndDimsILb0ELb0ELb0ELb0EEEEEEEE0_NS_4expt15ForallParamPackIJEEEEEvT_T0_.has_recursion, 0
	.set _ZN4RAJA28launch_new_reduce_global_fcnIZ4mainEUlNS_14LaunchContextTINS_3hip33LaunchContextIndicesAndDimsPolicyINS2_14IndicesAndDimsILb0ELb0ELb0ELb0EEEEEEEE0_NS_4expt15ForallParamPackIJEEEEEvT_T0_.has_indirect_call, 0
	.section	.AMDGPU.csdata,"",@progbits
; Kernel info:
; codeLenInByte = 588
; TotalNumSgprs: 40
; NumVgprs: 28
; ScratchSize: 0
; MemoryBound: 1
; FloatMode: 240
; IeeeMode: 1
; LDSByteSize: 0 bytes/workgroup (compile time only)
; SGPRBlocks: 0
; VGPRBlocks: 1
; NumSGPRsForWavesPerEU: 40
; NumVGPRsForWavesPerEU: 28
; NamedBarCnt: 0
; Occupancy: 16
; WaveLimiterHint : 0
; COMPUTE_PGM_RSRC2:SCRATCH_EN: 0
; COMPUTE_PGM_RSRC2:USER_SGPR: 2
; COMPUTE_PGM_RSRC2:TRAP_HANDLER: 0
; COMPUTE_PGM_RSRC2:TGID_X_EN: 1
; COMPUTE_PGM_RSRC2:TGID_Y_EN: 0
; COMPUTE_PGM_RSRC2:TGID_Z_EN: 0
; COMPUTE_PGM_RSRC2:TIDIG_COMP_CNT: 0
	.section	.text._ZN4RAJA28launch_new_reduce_global_fcnIZ4mainEUlNS_14LaunchContextTINS_3hip33LaunchContextIndicesAndDimsPolicyINS2_14IndicesAndDimsILb0ELb0ELb0ELb0EEEEEEEE1_NS_4expt15ForallParamPackIJEEEEEvT_T0_,"axG",@progbits,_ZN4RAJA28launch_new_reduce_global_fcnIZ4mainEUlNS_14LaunchContextTINS_3hip33LaunchContextIndicesAndDimsPolicyINS2_14IndicesAndDimsILb0ELb0ELb0ELb0EEEEEEEE1_NS_4expt15ForallParamPackIJEEEEEvT_T0_,comdat
	.globl	_ZN4RAJA28launch_new_reduce_global_fcnIZ4mainEUlNS_14LaunchContextTINS_3hip33LaunchContextIndicesAndDimsPolicyINS2_14IndicesAndDimsILb0ELb0ELb0ELb0EEEEEEEE1_NS_4expt15ForallParamPackIJEEEEEvT_T0_ ; -- Begin function _ZN4RAJA28launch_new_reduce_global_fcnIZ4mainEUlNS_14LaunchContextTINS_3hip33LaunchContextIndicesAndDimsPolicyINS2_14IndicesAndDimsILb0ELb0ELb0ELb0EEEEEEEE1_NS_4expt15ForallParamPackIJEEEEEvT_T0_
	.p2align	8
	.type	_ZN4RAJA28launch_new_reduce_global_fcnIZ4mainEUlNS_14LaunchContextTINS_3hip33LaunchContextIndicesAndDimsPolicyINS2_14IndicesAndDimsILb0ELb0ELb0ELb0EEEEEEEE1_NS_4expt15ForallParamPackIJEEEEEvT_T0_,@function
_ZN4RAJA28launch_new_reduce_global_fcnIZ4mainEUlNS_14LaunchContextTINS_3hip33LaunchContextIndicesAndDimsPolicyINS2_14IndicesAndDimsILb0ELb0ELb0ELb0EEEEEEEE1_NS_4expt15ForallParamPackIJEEEEEvT_T0_: ; @_ZN4RAJA28launch_new_reduce_global_fcnIZ4mainEUlNS_14LaunchContextTINS_3hip33LaunchContextIndicesAndDimsPolicyINS2_14IndicesAndDimsILb0ELb0ELb0ELb0EEEEEEEE1_NS_4expt15ForallParamPackIJEEEEEvT_T0_
; %bb.0:
	s_load_b256 s[4:11], s[0:1], 0x0
	s_bfe_u32 s2, ttmp6, 0x40010
	s_bfe_u32 s3, ttmp6, 0x40004
	s_add_co_i32 s2, s2, 1
	s_getreg_b32 s14, hwreg(HW_REG_IB_STS2, 6, 4)
	s_mul_i32 s2, ttmp7, s2
	s_mov_b32 s21, 0
	s_add_co_i32 s3, s3, s2
	s_cmp_eq_u32 s14, 0
	s_mov_b32 s23, s21
	s_cselect_b32 s22, ttmp7, s3
	s_delay_alu instid0(SALU_CYCLE_1) | instskip(SKIP_2) | instid1(SALU_CYCLE_1)
	s_lshl_b64 s[12:13], s[22:23], 4
	s_wait_kmcnt 0x0
	s_sub_nc_u64 s[2:3], s[6:7], s[4:5]
	v_cmp_ge_i64_e64 s2, s[12:13], s[2:3]
	s_and_b32 vcc_lo, exec_lo, s2
	s_cbranch_vccnz .LBB4_10
; %bb.1:
	s_bfe_u32 s2, ttmp6, 0x4000c
	s_and_b32 s15, ttmp6, 15
	s_add_co_i32 s2, s2, 1
	s_delay_alu instid0(SALU_CYCLE_1)
	s_mul_i32 s16, ttmp9, s2
	s_load_b64 s[2:3], s[0:1], 0x20
	s_add_co_i32 s15, s15, s16
	s_cmp_eq_u32 s14, 0
	s_sub_nc_u64 s[16:17], s[10:11], s[8:9]
	s_cselect_b32 s20, ttmp9, s15
	s_delay_alu instid0(SALU_CYCLE_1) | instskip(NEXT) | instid1(SALU_CYCLE_1)
	s_lshl_b64 s[14:15], s[20:21], 4
	v_cmp_ge_i64_e64 s16, s[14:15], s[16:17]
	s_and_b32 vcc_lo, exec_lo, s16
	s_cbranch_vccnz .LBB4_10
; %bb.2:
	s_add_nc_u64 s[16:17], s[4:5], s[12:13]
	v_bfe_u32 v4, v0, 10, 10
	s_add_nc_u64 s[12:13], s[16:17], 16
	v_mov_b32_e32 v5, 0
	v_min_i64 v[2:3], s[12:13], s[6:7]
	s_mov_b32 s5, exec_lo
	s_delay_alu instid0(VALU_DEP_1) | instskip(NEXT) | instid1(VALU_DEP_1)
	v_max_i64 v[2:3], s[16:17], v[2:3]
	v_sub_nc_u64_e64 v[2:3], v[2:3], s[16:17]
	s_delay_alu instid0(VALU_DEP_1)
	v_cmpx_gt_i64_e64 v[2:3], v[4:5]
	s_cbranch_execz .LBB4_10
; %bb.3:
	global_load_u16 v10, v5, s[0:1] offset:270
	s_add_nc_u64 s[6:7], s[8:9], s[14:15]
	v_mov_b32_e32 v1, v5
	s_add_nc_u64 s[12:13], s[6:7], 16
	s_mov_b32 s5, 0
	v_min_i64 v[6:7], s[12:13], s[10:11]
	s_clause 0x5
	s_load_b32 s9, s[0:1], 0x10c
	s_load_b128 s[36:39], s[0:1], 0x80
	s_load_b128 s[40:43], s[0:1], 0x38
	;; [unrolled: 1-line block ×3, first 2 shown]
	s_load_b64 s[10:11], s[0:1], 0x68
	s_load_b64 s[18:19], s[0:1], 0xb0
	s_wait_xcnt 0x0
	s_lshl_b32 s0, s22, 4
	s_lshl_b32 s1, s20, 4
	v_add3_u32 v22, s4, s0, v4
	s_wait_kmcnt 0x0
	s_and_b32 s4, s9, 0xffff
	s_lshl_b64 s[20:21], s[38:39], 3
	s_lshl_b64 s[22:23], s[36:37], 5
	s_mul_u64 s[24:25], s[42:43], 24
	s_lshl_b64 s[26:27], s[40:41], 3
	s_lshl_b64 s[28:29], s[42:43], 5
	;; [unrolled: 1-line block ×5, first 2 shown]
	s_delay_alu instid0(VALU_DEP_2) | instskip(SKIP_2) | instid1(VALU_DEP_2)
	v_max_i64 v[8:9], s[6:7], v[6:7]
	v_and_b32_e32 v6, 0x3ff, v0
	v_mov_b32_e32 v7, v5
	v_add3_u32 v23, s8, s1, v6
	s_mul_u64 s[8:9], s[36:37], 24
	s_lshl_b64 s[36:37], s[36:37], 3
	s_mov_b32 s1, s5
	s_delay_alu instid0(VALU_DEP_4) | instskip(NEXT) | instid1(VALU_DEP_1)
	v_sub_nc_u64_e64 v[8:9], v[8:9], s[6:7]
	v_cmp_gt_i64_e32 vcc_lo, v[8:9], v[6:7]
	s_wait_loadcnt 0x0
	v_and_b32_e32 v0, 0xffff, v10
	s_branch .LBB4_5
.LBB4_4:                                ;   in Loop: Header=BB4_5 Depth=1
	s_or_b32 exec_lo, exec_lo, s7
	v_add_nc_u64_e32 v[4:5], v[4:5], v[0:1]
	v_add_nc_u32_e32 v22, v22, v0
	s_delay_alu instid0(VALU_DEP_2) | instskip(SKIP_1) | instid1(SALU_CYCLE_1)
	v_cmp_ge_i64_e64 s0, v[4:5], v[2:3]
	s_or_b32 s1, s0, s1
	s_and_not1_b32 exec_lo, exec_lo, s1
	s_cbranch_execz .LBB4_10
.LBB4_5:                                ; =>This Loop Header: Depth=1
                                        ;     Child Loop BB4_7 Depth 2
                                        ;       Child Loop BB4_8 Depth 3
	s_and_saveexec_b32 s7, vcc_lo
	s_cbranch_execz .LBB4_4
; %bb.6:                                ;   in Loop: Header=BB4_5 Depth=1
	v_dual_add_nc_u32 v10, s16, v4 :: v_dual_ashrrev_i32 v14, 31, v22
	s_mov_b32 s17, 0
	s_delay_alu instid0(VALU_DEP_1) | instskip(NEXT) | instid1(VALU_DEP_1)
	v_dual_mov_b32 v24, v23 :: v_dual_ashrrev_i32 v11, 31, v10
	v_mul_u64_e32 v[12:13], s[14:15], v[10:11]
	v_mad_nc_u64_u32 v[10:11], s20, v22, s[10:11]
	s_delay_alu instid0(VALU_DEP_1) | instskip(NEXT) | instid1(VALU_DEP_1)
	v_mad_u32 v11, s21, v22, v11
	v_mad_u32 v11, s20, v14, v11
	v_mov_b64_e32 v[14:15], v[6:7]
	v_lshl_add_u64 v[12:13], v[12:13], 3, s[18:19]
.LBB4_7:                                ;   Parent Loop BB4_5 Depth=1
                                        ; =>  This Loop Header: Depth=2
                                        ;       Child Loop BB4_8 Depth 3
	v_mad_nc_u64_u32 v[18:19], s26, v24, s[2:3]
	v_ashrrev_i32_e32 v17, 31, v24
	v_mov_b64_e32 v[20:21], v[10:11]
	s_movk_i32 s0, 0x3e8
	s_delay_alu instid0(VALU_DEP_3) | instskip(NEXT) | instid1(VALU_DEP_1)
	v_mad_u32 v16, s27, v24, v19
	v_mad_u32 v19, s26, v17, v16
	v_mov_b64_e32 v[16:17], 0
.LBB4_8:                                ;   Parent Loop BB4_5 Depth=1
                                        ;     Parent Loop BB4_7 Depth=2
                                        ; =>    This Inner Loop Header: Depth=3
	global_load_b64 v[26:27], v[18:19], off
	global_load_b64 v[28:29], v[20:21], off
	s_wait_xcnt 0x3
	v_add_nc_u64_e32 v[30:31], s[38:39], v[18:19]
	s_wait_xcnt 0x2
	v_add_nc_u64_e32 v[32:33], s[36:37], v[20:21]
	s_add_co_i32 s0, s0, -4
	global_load_b64 v[34:35], v[30:31], off
	global_load_b64 v[36:37], v[32:33], off
	s_wait_xcnt 0x1
	v_add_nc_u64_e32 v[30:31], s[34:35], v[18:19]
	s_wait_xcnt 0x0
	v_add_nc_u64_e32 v[32:33], s[30:31], v[20:21]
	s_cmp_lg_u32 s0, 0
	global_load_b64 v[38:39], v[30:31], off
	global_load_b64 v[40:41], v[32:33], off
	s_wait_xcnt 0x1
	v_add_nc_u64_e32 v[30:31], s[24:25], v[18:19]
	s_wait_xcnt 0x0
	v_add_nc_u64_e32 v[32:33], s[8:9], v[20:21]
	v_add_nc_u64_e32 v[20:21], s[22:23], v[20:21]
	;; [unrolled: 1-line block ×3, first 2 shown]
	global_load_b64 v[42:43], v[30:31], off
	global_load_b64 v[44:45], v[32:33], off
	s_wait_loadcnt 0x6
	v_fmac_f64_e32 v[16:17], v[26:27], v[28:29]
	s_wait_loadcnt 0x4
	s_delay_alu instid0(VALU_DEP_1) | instskip(SKIP_1) | instid1(VALU_DEP_1)
	v_fmac_f64_e32 v[16:17], v[34:35], v[36:37]
	s_wait_loadcnt 0x2
	v_fmac_f64_e32 v[16:17], v[38:39], v[40:41]
	s_wait_loadcnt 0x0
	s_delay_alu instid0(VALU_DEP_1)
	v_fmac_f64_e32 v[16:17], v[42:43], v[44:45]
	s_cbranch_scc1 .LBB4_8
; %bb.9:                                ;   in Loop: Header=BB4_7 Depth=2
	v_dual_add_nc_u32 v18, s6, v14 :: v_dual_add_nc_u32 v24, s4, v24
	v_add_nc_u64_e32 v[14:15], s[4:5], v[14:15]
	s_delay_alu instid0(VALU_DEP_2) | instskip(NEXT) | instid1(VALU_DEP_2)
	v_ashrrev_i32_e32 v19, 31, v18
	v_cmp_ge_i64_e64 s0, v[14:15], v[8:9]
	s_delay_alu instid0(VALU_DEP_2) | instskip(SKIP_1) | instid1(VALU_DEP_1)
	v_mul_u64_e32 v[18:19], s[12:13], v[18:19]
	s_or_b32 s17, s0, s17
	v_lshl_add_u64 v[18:19], v[18:19], 3, v[12:13]
	global_store_b64 v[18:19], v[16:17], off
	s_wait_xcnt 0x0
	s_and_not1_b32 exec_lo, exec_lo, s17
	s_cbranch_execnz .LBB4_7
	s_branch .LBB4_4
.LBB4_10:
	s_endpgm
	.section	.rodata,"a",@progbits
	.p2align	6, 0x0
	.amdhsa_kernel _ZN4RAJA28launch_new_reduce_global_fcnIZ4mainEUlNS_14LaunchContextTINS_3hip33LaunchContextIndicesAndDimsPolicyINS2_14IndicesAndDimsILb0ELb0ELb0ELb0EEEEEEEE1_NS_4expt15ForallParamPackIJEEEEEvT_T0_
		.amdhsa_group_segment_fixed_size 0
		.amdhsa_private_segment_fixed_size 0
		.amdhsa_kernarg_size 512
		.amdhsa_user_sgpr_count 2
		.amdhsa_user_sgpr_dispatch_ptr 0
		.amdhsa_user_sgpr_queue_ptr 0
		.amdhsa_user_sgpr_kernarg_segment_ptr 1
		.amdhsa_user_sgpr_dispatch_id 0
		.amdhsa_user_sgpr_kernarg_preload_length 0
		.amdhsa_user_sgpr_kernarg_preload_offset 0
		.amdhsa_user_sgpr_private_segment_size 0
		.amdhsa_wavefront_size32 1
		.amdhsa_uses_dynamic_stack 0
		.amdhsa_enable_private_segment 0
		.amdhsa_system_sgpr_workgroup_id_x 1
		.amdhsa_system_sgpr_workgroup_id_y 1
		.amdhsa_system_sgpr_workgroup_id_z 0
		.amdhsa_system_sgpr_workgroup_info 0
		.amdhsa_system_vgpr_workitem_id 1
		.amdhsa_next_free_vgpr 46
		.amdhsa_next_free_sgpr 44
		.amdhsa_named_barrier_count 0
		.amdhsa_reserve_vcc 1
		.amdhsa_float_round_mode_32 0
		.amdhsa_float_round_mode_16_64 0
		.amdhsa_float_denorm_mode_32 3
		.amdhsa_float_denorm_mode_16_64 3
		.amdhsa_fp16_overflow 0
		.amdhsa_memory_ordered 1
		.amdhsa_forward_progress 1
		.amdhsa_inst_pref_size 8
		.amdhsa_round_robin_scheduling 0
		.amdhsa_exception_fp_ieee_invalid_op 0
		.amdhsa_exception_fp_denorm_src 0
		.amdhsa_exception_fp_ieee_div_zero 0
		.amdhsa_exception_fp_ieee_overflow 0
		.amdhsa_exception_fp_ieee_underflow 0
		.amdhsa_exception_fp_ieee_inexact 0
		.amdhsa_exception_int_div_zero 0
	.end_amdhsa_kernel
	.section	.text._ZN4RAJA28launch_new_reduce_global_fcnIZ4mainEUlNS_14LaunchContextTINS_3hip33LaunchContextIndicesAndDimsPolicyINS2_14IndicesAndDimsILb0ELb0ELb0ELb0EEEEEEEE1_NS_4expt15ForallParamPackIJEEEEEvT_T0_,"axG",@progbits,_ZN4RAJA28launch_new_reduce_global_fcnIZ4mainEUlNS_14LaunchContextTINS_3hip33LaunchContextIndicesAndDimsPolicyINS2_14IndicesAndDimsILb0ELb0ELb0ELb0EEEEEEEE1_NS_4expt15ForallParamPackIJEEEEEvT_T0_,comdat
.Lfunc_end4:
	.size	_ZN4RAJA28launch_new_reduce_global_fcnIZ4mainEUlNS_14LaunchContextTINS_3hip33LaunchContextIndicesAndDimsPolicyINS2_14IndicesAndDimsILb0ELb0ELb0ELb0EEEEEEEE1_NS_4expt15ForallParamPackIJEEEEEvT_T0_, .Lfunc_end4-_ZN4RAJA28launch_new_reduce_global_fcnIZ4mainEUlNS_14LaunchContextTINS_3hip33LaunchContextIndicesAndDimsPolicyINS2_14IndicesAndDimsILb0ELb0ELb0ELb0EEEEEEEE1_NS_4expt15ForallParamPackIJEEEEEvT_T0_
                                        ; -- End function
	.set _ZN4RAJA28launch_new_reduce_global_fcnIZ4mainEUlNS_14LaunchContextTINS_3hip33LaunchContextIndicesAndDimsPolicyINS2_14IndicesAndDimsILb0ELb0ELb0ELb0EEEEEEEE1_NS_4expt15ForallParamPackIJEEEEEvT_T0_.num_vgpr, 46
	.set _ZN4RAJA28launch_new_reduce_global_fcnIZ4mainEUlNS_14LaunchContextTINS_3hip33LaunchContextIndicesAndDimsPolicyINS2_14IndicesAndDimsILb0ELb0ELb0ELb0EEEEEEEE1_NS_4expt15ForallParamPackIJEEEEEvT_T0_.num_agpr, 0
	.set _ZN4RAJA28launch_new_reduce_global_fcnIZ4mainEUlNS_14LaunchContextTINS_3hip33LaunchContextIndicesAndDimsPolicyINS2_14IndicesAndDimsILb0ELb0ELb0ELb0EEEEEEEE1_NS_4expt15ForallParamPackIJEEEEEvT_T0_.numbered_sgpr, 44
	.set _ZN4RAJA28launch_new_reduce_global_fcnIZ4mainEUlNS_14LaunchContextTINS_3hip33LaunchContextIndicesAndDimsPolicyINS2_14IndicesAndDimsILb0ELb0ELb0ELb0EEEEEEEE1_NS_4expt15ForallParamPackIJEEEEEvT_T0_.num_named_barrier, 0
	.set _ZN4RAJA28launch_new_reduce_global_fcnIZ4mainEUlNS_14LaunchContextTINS_3hip33LaunchContextIndicesAndDimsPolicyINS2_14IndicesAndDimsILb0ELb0ELb0ELb0EEEEEEEE1_NS_4expt15ForallParamPackIJEEEEEvT_T0_.private_seg_size, 0
	.set _ZN4RAJA28launch_new_reduce_global_fcnIZ4mainEUlNS_14LaunchContextTINS_3hip33LaunchContextIndicesAndDimsPolicyINS2_14IndicesAndDimsILb0ELb0ELb0ELb0EEEEEEEE1_NS_4expt15ForallParamPackIJEEEEEvT_T0_.uses_vcc, 1
	.set _ZN4RAJA28launch_new_reduce_global_fcnIZ4mainEUlNS_14LaunchContextTINS_3hip33LaunchContextIndicesAndDimsPolicyINS2_14IndicesAndDimsILb0ELb0ELb0ELb0EEEEEEEE1_NS_4expt15ForallParamPackIJEEEEEvT_T0_.uses_flat_scratch, 0
	.set _ZN4RAJA28launch_new_reduce_global_fcnIZ4mainEUlNS_14LaunchContextTINS_3hip33LaunchContextIndicesAndDimsPolicyINS2_14IndicesAndDimsILb0ELb0ELb0ELb0EEEEEEEE1_NS_4expt15ForallParamPackIJEEEEEvT_T0_.has_dyn_sized_stack, 0
	.set _ZN4RAJA28launch_new_reduce_global_fcnIZ4mainEUlNS_14LaunchContextTINS_3hip33LaunchContextIndicesAndDimsPolicyINS2_14IndicesAndDimsILb0ELb0ELb0ELb0EEEEEEEE1_NS_4expt15ForallParamPackIJEEEEEvT_T0_.has_recursion, 0
	.set _ZN4RAJA28launch_new_reduce_global_fcnIZ4mainEUlNS_14LaunchContextTINS_3hip33LaunchContextIndicesAndDimsPolicyINS2_14IndicesAndDimsILb0ELb0ELb0ELb0EEEEEEEE1_NS_4expt15ForallParamPackIJEEEEEvT_T0_.has_indirect_call, 0
	.section	.AMDGPU.csdata,"",@progbits
; Kernel info:
; codeLenInByte = 904
; TotalNumSgprs: 46
; NumVgprs: 46
; ScratchSize: 0
; MemoryBound: 1
; FloatMode: 240
; IeeeMode: 1
; LDSByteSize: 0 bytes/workgroup (compile time only)
; SGPRBlocks: 0
; VGPRBlocks: 2
; NumSGPRsForWavesPerEU: 46
; NumVGPRsForWavesPerEU: 46
; NamedBarCnt: 0
; Occupancy: 16
; WaveLimiterHint : 0
; COMPUTE_PGM_RSRC2:SCRATCH_EN: 0
; COMPUTE_PGM_RSRC2:USER_SGPR: 2
; COMPUTE_PGM_RSRC2:TRAP_HANDLER: 0
; COMPUTE_PGM_RSRC2:TGID_X_EN: 1
; COMPUTE_PGM_RSRC2:TGID_Y_EN: 1
; COMPUTE_PGM_RSRC2:TGID_Z_EN: 0
; COMPUTE_PGM_RSRC2:TIDIG_COMP_CNT: 1
	.text
	.p2alignl 7, 3214868480
	.fill 96, 4, 3214868480
	.section	.AMDGPU.gpr_maximums,"",@progbits
	.set amdgpu.max_num_vgpr, 0
	.set amdgpu.max_num_agpr, 0
	.set amdgpu.max_num_sgpr, 0
	.text
	.type	__hip_cuid_2c731f12d64e8876,@object ; @__hip_cuid_2c731f12d64e8876
	.section	.bss,"aw",@nobits
	.globl	__hip_cuid_2c731f12d64e8876
__hip_cuid_2c731f12d64e8876:
	.byte	0                               ; 0x0
	.size	__hip_cuid_2c731f12d64e8876, 1

	.ident	"AMD clang version 22.0.0git (https://github.com/RadeonOpenCompute/llvm-project roc-7.2.4 26084 f58b06dce1f9c15707c5f808fd002e18c2accf7e)"
	.section	".note.GNU-stack","",@progbits
	.addrsig
	.addrsig_sym __hip_cuid_2c731f12d64e8876
	.amdgpu_metadata
---
amdhsa.kernels:
  - .args:
      - .offset:         0
        .size:           4
        .value_kind:     by_value
      - .address_space:  global
        .offset:         8
        .size:           8
        .value_kind:     global_buffer
      - .address_space:  global
        .offset:         16
        .size:           8
        .value_kind:     global_buffer
      - .address_space:  global
        .offset:         24
        .size:           8
        .value_kind:     global_buffer
      - .offset:         32
        .size:           4
        .value_kind:     hidden_block_count_x
      - .offset:         36
        .size:           4
        .value_kind:     hidden_block_count_y
      - .offset:         40
        .size:           4
        .value_kind:     hidden_block_count_z
      - .offset:         44
        .size:           2
        .value_kind:     hidden_group_size_x
      - .offset:         46
        .size:           2
        .value_kind:     hidden_group_size_y
      - .offset:         48
        .size:           2
        .value_kind:     hidden_group_size_z
      - .offset:         50
        .size:           2
        .value_kind:     hidden_remainder_x
      - .offset:         52
        .size:           2
        .value_kind:     hidden_remainder_y
      - .offset:         54
        .size:           2
        .value_kind:     hidden_remainder_z
      - .offset:         72
        .size:           8
        .value_kind:     hidden_global_offset_x
      - .offset:         80
        .size:           8
        .value_kind:     hidden_global_offset_y
      - .offset:         88
        .size:           8
        .value_kind:     hidden_global_offset_z
      - .offset:         96
        .size:           2
        .value_kind:     hidden_grid_dims
    .group_segment_fixed_size: 0
    .kernarg_segment_align: 8
    .kernarg_segment_size: 288
    .language:       OpenCL C
    .language_version:
      - 2
      - 0
    .max_flat_workgroup_size: 1024
    .name:           _Z13matMultKerneliPdS_S_
    .private_segment_fixed_size: 0
    .sgpr_count:     9
    .sgpr_spill_count: 0
    .symbol:         _Z13matMultKerneliPdS_S_.kd
    .uniform_work_group_size: 1
    .uses_dynamic_stack: false
    .vgpr_count:     12
    .vgpr_spill_count: 0
    .wavefront_size: 32
  - .args:
      - .offset:         0
        .size:           4
        .value_kind:     by_value
      - .address_space:  global
        .offset:         8
        .size:           8
        .value_kind:     global_buffer
      - .address_space:  global
        .offset:         16
        .size:           8
        .value_kind:     global_buffer
      - .address_space:  global
        .offset:         24
        .size:           8
        .value_kind:     global_buffer
      - .offset:         32
        .size:           4
        .value_kind:     hidden_block_count_x
      - .offset:         36
        .size:           4
        .value_kind:     hidden_block_count_y
      - .offset:         40
        .size:           4
        .value_kind:     hidden_block_count_z
      - .offset:         44
        .size:           2
        .value_kind:     hidden_group_size_x
      - .offset:         46
        .size:           2
        .value_kind:     hidden_group_size_y
      - .offset:         48
        .size:           2
        .value_kind:     hidden_group_size_z
      - .offset:         50
        .size:           2
        .value_kind:     hidden_remainder_x
      - .offset:         52
        .size:           2
        .value_kind:     hidden_remainder_y
      - .offset:         54
        .size:           2
        .value_kind:     hidden_remainder_z
      - .offset:         72
        .size:           8
        .value_kind:     hidden_global_offset_x
      - .offset:         80
        .size:           8
        .value_kind:     hidden_global_offset_y
      - .offset:         88
        .size:           8
        .value_kind:     hidden_global_offset_z
      - .offset:         96
        .size:           2
        .value_kind:     hidden_grid_dims
    .group_segment_fixed_size: 6144
    .kernarg_segment_align: 8
    .kernarg_segment_size: 288
    .language:       OpenCL C
    .language_version:
      - 2
      - 0
    .max_flat_workgroup_size: 1024
    .name:           _Z19sharedMatMultKerneliPdS_S_
    .private_segment_fixed_size: 0
    .sgpr_count:     18
    .sgpr_spill_count: 0
    .symbol:         _Z19sharedMatMultKerneliPdS_S_.kd
    .uniform_work_group_size: 1
    .uses_dynamic_stack: false
    .vgpr_count:     28
    .vgpr_spill_count: 0
    .wavefront_size: 32
  - .args:
      - .offset:         0
        .size:           248
        .value_kind:     by_value
      - .offset:         248
        .size:           1
        .value_kind:     by_value
      - .offset:         256
        .size:           4
        .value_kind:     hidden_block_count_x
      - .offset:         260
        .size:           4
        .value_kind:     hidden_block_count_y
      - .offset:         264
        .size:           4
        .value_kind:     hidden_block_count_z
      - .offset:         268
        .size:           2
        .value_kind:     hidden_group_size_x
      - .offset:         270
        .size:           2
        .value_kind:     hidden_group_size_y
      - .offset:         272
        .size:           2
        .value_kind:     hidden_group_size_z
      - .offset:         274
        .size:           2
        .value_kind:     hidden_remainder_x
      - .offset:         276
        .size:           2
        .value_kind:     hidden_remainder_y
      - .offset:         278
        .size:           2
        .value_kind:     hidden_remainder_z
      - .offset:         296
        .size:           8
        .value_kind:     hidden_global_offset_x
      - .offset:         304
        .size:           8
        .value_kind:     hidden_global_offset_y
      - .offset:         312
        .size:           8
        .value_kind:     hidden_global_offset_z
      - .offset:         320
        .size:           2
        .value_kind:     hidden_grid_dims
    .group_segment_fixed_size: 0
    .kernarg_segment_align: 8
    .kernarg_segment_size: 512
    .language:       OpenCL C
    .language_version:
      - 2
      - 0
    .max_flat_workgroup_size: 1024
    .name:           _ZN4RAJA28launch_new_reduce_global_fcnIZ4mainEUlNS_14LaunchContextTINS_3hip33LaunchContextIndicesAndDimsPolicyINS2_14IndicesAndDimsILb0ELb0ELb0ELb0EEEEEEEE_NS_4expt15ForallParamPackIJEEEEEvT_T0_
    .private_segment_fixed_size: 0
    .sgpr_count:     30
    .sgpr_spill_count: 0
    .symbol:         _ZN4RAJA28launch_new_reduce_global_fcnIZ4mainEUlNS_14LaunchContextTINS_3hip33LaunchContextIndicesAndDimsPolicyINS2_14IndicesAndDimsILb0ELb0ELb0ELb0EEEEEEEE_NS_4expt15ForallParamPackIJEEEEEvT_T0_.kd
    .uniform_work_group_size: 1
    .uses_dynamic_stack: false
    .vgpr_count:     30
    .vgpr_spill_count: 0
    .wavefront_size: 32
  - .args:
      - .offset:         0
        .size:           248
        .value_kind:     by_value
      - .offset:         248
        .size:           1
        .value_kind:     by_value
      - .offset:         256
        .size:           4
        .value_kind:     hidden_block_count_x
      - .offset:         260
        .size:           4
        .value_kind:     hidden_block_count_y
      - .offset:         264
        .size:           4
        .value_kind:     hidden_block_count_z
      - .offset:         268
        .size:           2
        .value_kind:     hidden_group_size_x
      - .offset:         270
        .size:           2
        .value_kind:     hidden_group_size_y
      - .offset:         272
        .size:           2
        .value_kind:     hidden_group_size_z
      - .offset:         274
        .size:           2
        .value_kind:     hidden_remainder_x
      - .offset:         276
        .size:           2
        .value_kind:     hidden_remainder_y
      - .offset:         278
        .size:           2
        .value_kind:     hidden_remainder_z
      - .offset:         296
        .size:           8
        .value_kind:     hidden_global_offset_x
      - .offset:         304
        .size:           8
        .value_kind:     hidden_global_offset_y
      - .offset:         312
        .size:           8
        .value_kind:     hidden_global_offset_z
      - .offset:         320
        .size:           2
        .value_kind:     hidden_grid_dims
    .group_segment_fixed_size: 0
    .kernarg_segment_align: 8
    .kernarg_segment_size: 512
    .language:       OpenCL C
    .language_version:
      - 2
      - 0
    .max_flat_workgroup_size: 1024
    .name:           _ZN4RAJA28launch_new_reduce_global_fcnIZ4mainEUlNS_14LaunchContextTINS_3hip33LaunchContextIndicesAndDimsPolicyINS2_14IndicesAndDimsILb0ELb0ELb0ELb0EEEEEEEE0_NS_4expt15ForallParamPackIJEEEEEvT_T0_
    .private_segment_fixed_size: 0
    .sgpr_count:     40
    .sgpr_spill_count: 0
    .symbol:         _ZN4RAJA28launch_new_reduce_global_fcnIZ4mainEUlNS_14LaunchContextTINS_3hip33LaunchContextIndicesAndDimsPolicyINS2_14IndicesAndDimsILb0ELb0ELb0ELb0EEEEEEEE0_NS_4expt15ForallParamPackIJEEEEEvT_T0_.kd
    .uniform_work_group_size: 1
    .uses_dynamic_stack: false
    .vgpr_count:     28
    .vgpr_spill_count: 0
    .wavefront_size: 32
  - .args:
      - .offset:         0
        .size:           248
        .value_kind:     by_value
      - .offset:         248
        .size:           1
        .value_kind:     by_value
      - .offset:         256
        .size:           4
        .value_kind:     hidden_block_count_x
      - .offset:         260
        .size:           4
        .value_kind:     hidden_block_count_y
      - .offset:         264
        .size:           4
        .value_kind:     hidden_block_count_z
      - .offset:         268
        .size:           2
        .value_kind:     hidden_group_size_x
      - .offset:         270
        .size:           2
        .value_kind:     hidden_group_size_y
      - .offset:         272
        .size:           2
        .value_kind:     hidden_group_size_z
      - .offset:         274
        .size:           2
        .value_kind:     hidden_remainder_x
      - .offset:         276
        .size:           2
        .value_kind:     hidden_remainder_y
      - .offset:         278
        .size:           2
        .value_kind:     hidden_remainder_z
      - .offset:         296
        .size:           8
        .value_kind:     hidden_global_offset_x
      - .offset:         304
        .size:           8
        .value_kind:     hidden_global_offset_y
      - .offset:         312
        .size:           8
        .value_kind:     hidden_global_offset_z
      - .offset:         320
        .size:           2
        .value_kind:     hidden_grid_dims
    .group_segment_fixed_size: 0
    .kernarg_segment_align: 8
    .kernarg_segment_size: 512
    .language:       OpenCL C
    .language_version:
      - 2
      - 0
    .max_flat_workgroup_size: 1024
    .name:           _ZN4RAJA28launch_new_reduce_global_fcnIZ4mainEUlNS_14LaunchContextTINS_3hip33LaunchContextIndicesAndDimsPolicyINS2_14IndicesAndDimsILb0ELb0ELb0ELb0EEEEEEEE1_NS_4expt15ForallParamPackIJEEEEEvT_T0_
    .private_segment_fixed_size: 0
    .sgpr_count:     46
    .sgpr_spill_count: 0
    .symbol:         _ZN4RAJA28launch_new_reduce_global_fcnIZ4mainEUlNS_14LaunchContextTINS_3hip33LaunchContextIndicesAndDimsPolicyINS2_14IndicesAndDimsILb0ELb0ELb0ELb0EEEEEEEE1_NS_4expt15ForallParamPackIJEEEEEvT_T0_.kd
    .uniform_work_group_size: 1
    .uses_dynamic_stack: false
    .vgpr_count:     46
    .vgpr_spill_count: 0
    .wavefront_size: 32
amdhsa.target:   amdgcn-amd-amdhsa--gfx1250
amdhsa.version:
  - 1
  - 2
...

	.end_amdgpu_metadata
